;; amdgpu-corpus repo=ROCm/rocFFT kind=compiled arch=gfx950 opt=O3
	.text
	.amdgcn_target "amdgcn-amd-amdhsa--gfx950"
	.amdhsa_code_object_version 6
	.protected	bluestein_single_fwd_len147_dim1_dp_op_CI_CI ; -- Begin function bluestein_single_fwd_len147_dim1_dp_op_CI_CI
	.globl	bluestein_single_fwd_len147_dim1_dp_op_CI_CI
	.p2align	8
	.type	bluestein_single_fwd_len147_dim1_dp_op_CI_CI,@function
bluestein_single_fwd_len147_dim1_dp_op_CI_CI: ; @bluestein_single_fwd_len147_dim1_dp_op_CI_CI
; %bb.0:
	s_load_dwordx4 s[16:19], s[0:1], 0x28
	v_mul_u32_u24_e32 v1, 0xc31, v0
	v_lshrrev_b32_e32 v2, 16, v1
	v_mad_u64_u32 v[114:115], s[2:3], s2, 3, v[2:3]
	v_mov_b32_e32 v113, 0
	v_mov_b32_e32 v115, v113
	s_waitcnt lgkmcnt(0)
	v_cmp_gt_u64_e32 vcc, s[16:17], v[114:115]
	s_and_saveexec_b64 s[2:3], vcc
	s_cbranch_execz .LBB0_10
; %bb.1:
	s_load_dwordx4 s[4:7], s[0:1], 0x18
	s_load_dwordx4 s[8:11], s[0:1], 0x0
	v_mul_lo_u16_e32 v1, 21, v2
	v_sub_u16_e32 v112, v0, v1
	v_mov_b32_e32 v4, s18
	s_waitcnt lgkmcnt(0)
	s_load_dwordx4 s[12:15], s[4:5], 0x0
	v_mov_b32_e32 v5, s19
	v_mov_b32_e32 v14, 0x150
	v_lshlrev_b32_e32 v116, 4, v112
	global_load_dwordx4 v[24:27], v116, s[8:9]
	s_waitcnt lgkmcnt(0)
	v_mad_u64_u32 v[0:1], s[2:3], s14, v114, 0
	v_mov_b32_e32 v2, v1
	v_mad_u64_u32 v[2:3], s[2:3], s15, v114, v[2:3]
	v_mov_b32_e32 v1, v2
	;; [unrolled: 2-line block ×4, first 2 shown]
	v_lshl_add_u64 v[0:1], v[0:1], 4, v[4:5]
	v_lshl_add_u64 v[0:1], v[2:3], 4, v[0:1]
	global_load_dwordx4 v[28:31], v[0:1], off
	v_mad_u64_u32 v[0:1], s[2:3], s12, v14, v[0:1]
	s_mul_i32 s4, s13, 0x150
	v_add_u32_e32 v1, s4, v1
	global_load_dwordx4 v[16:19], v116, s[8:9] offset:336
	global_load_dwordx4 v[32:35], v[0:1], off
	v_mad_u64_u32 v[4:5], s[2:3], s12, v14, v[0:1]
	v_add_u32_e32 v5, s4, v5
	global_load_dwordx4 v[36:39], v[4:5], off
	global_load_dwordx4 v[0:3], v116, s[8:9] offset:672
	v_mad_u64_u32 v[4:5], s[2:3], s12, v14, v[4:5]
	v_add_u32_e32 v5, s4, v5
	global_load_dwordx4 v[20:23], v116, s[8:9] offset:1008
	global_load_dwordx4 v[40:43], v[4:5], off
	v_mad_u64_u32 v[8:9], s[2:3], s12, v14, v[4:5]
	v_add_u32_e32 v9, s4, v9
	global_load_dwordx4 v[44:47], v[8:9], off
	global_load_dwordx4 v[4:7], v116, s[8:9] offset:1344
	v_mad_u64_u32 v[12:13], s[2:3], s12, v14, v[8:9]
	v_add_u32_e32 v13, s4, v13
	global_load_dwordx4 v[48:51], v[12:13], off
	global_load_dwordx4 v[8:11], v116, s[8:9] offset:1680
	v_mad_u64_u32 v[56:57], s[2:3], s12, v14, v[12:13]
	v_add_u32_e32 v57, s4, v57
	global_load_dwordx4 v[12:15], v116, s[8:9] offset:2016
	global_load_dwordx4 v[52:55], v[56:57], off
	s_mov_b32 s2, 0xaaaaaaab
	v_mul_hi_u32 v56, v114, s2
	v_lshrrev_b32_e32 v56, 1, v56
	v_lshl_add_u32 v56, v56, 1, v56
	v_sub_u32_e32 v56, v114, v56
	v_mul_u32_u24_e32 v56, 0x93, v56
	v_lshlrev_b32_e32 v120, 4, v56
	v_add_u32_e32 v115, v116, v120
	s_load_dwordx4 s[4:7], s[6:7], 0x0
	s_mov_b32 s12, 0x37e14327
	s_mov_b32 s2, 0x36b3c0b5
	;; [unrolled: 1-line block ×20, first 2 shown]
	s_load_dwordx2 s[0:1], s[0:1], 0x38
	v_mov_b32_e32 v117, v113
	v_cmp_gt_u16_e32 vcc, 7, v112
	s_waitcnt vmcnt(12)
	v_mul_f64 v[56:57], v[30:31], v[26:27]
	v_mul_f64 v[58:59], v[28:29], v[26:27]
	v_fmac_f64_e32 v[56:57], v[28:29], v[24:25]
	v_fma_f64 v[58:59], v[30:31], v[24:25], -v[58:59]
	ds_write_b128 v115, v[56:59]
	s_waitcnt vmcnt(10)
	v_mul_f64 v[28:29], v[34:35], v[18:19]
	v_mul_f64 v[30:31], v[32:33], v[18:19]
	v_fmac_f64_e32 v[28:29], v[32:33], v[16:17]
	v_fma_f64 v[30:31], v[34:35], v[16:17], -v[30:31]
	ds_write_b128 v115, v[28:31] offset:336
	s_waitcnt vmcnt(8)
	v_mul_f64 v[28:29], v[38:39], v[2:3]
	v_mul_f64 v[30:31], v[36:37], v[2:3]
	v_fmac_f64_e32 v[28:29], v[36:37], v[0:1]
	v_fma_f64 v[30:31], v[38:39], v[0:1], -v[30:31]
	ds_write_b128 v115, v[28:31] offset:672
	;; [unrolled: 6-line block ×6, first 2 shown]
	s_waitcnt lgkmcnt(0)
	; wave barrier
	s_waitcnt lgkmcnt(0)
	ds_read_b128 v[28:31], v115
	ds_read_b128 v[32:35], v115 offset:336
	ds_read_b128 v[36:39], v115 offset:2016
	ds_read_b128 v[40:43], v115 offset:672
	ds_read_b128 v[44:47], v115 offset:1008
	ds_read_b128 v[48:51], v115 offset:1344
	ds_read_b128 v[52:55], v115 offset:1680
	s_waitcnt lgkmcnt(4)
	v_add_f64 v[56:57], v[32:33], v[36:37]
	v_add_f64 v[32:33], v[32:33], -v[36:37]
	v_add_f64 v[58:59], v[34:35], v[38:39]
	v_add_f64 v[34:35], v[34:35], -v[38:39]
	s_waitcnt lgkmcnt(0)
	v_add_f64 v[36:37], v[40:41], v[52:53]
	v_add_f64 v[38:39], v[42:43], v[54:55]
	v_add_f64 v[40:41], v[40:41], -v[52:53]
	v_add_f64 v[52:53], v[44:45], v[48:49]
	v_add_f64 v[44:45], v[48:49], -v[44:45]
	;; [unrolled: 2-line block ×4, first 2 shown]
	v_add_f64 v[50:51], v[38:39], v[58:59]
	v_add_f64 v[48:49], v[52:53], v[48:49]
	;; [unrolled: 1-line block ×5, first 2 shown]
	v_add_f64 v[60:61], v[36:37], -v[56:57]
	v_add_f64 v[62:63], v[38:39], -v[58:59]
	;; [unrolled: 1-line block ×6, first 2 shown]
	v_add_f64 v[64:65], v[44:45], v[40:41]
	v_add_f64 v[52:53], v[44:45], -v[40:41]
	v_add_f64 v[54:55], v[46:47], -v[42:43]
	;; [unrolled: 1-line block ×4, first 2 shown]
	v_add_f64 v[34:35], v[66:67], v[34:35]
	v_add_f64 v[30:31], v[30:31], v[50:51]
	v_mov_b64_e32 v[66:67], v[28:29]
	v_add_f64 v[44:45], v[32:33], -v[44:45]
	v_add_f64 v[40:41], v[40:41], -v[32:33]
	v_add_f64 v[32:33], v[64:65], v[32:33]
	v_mul_f64 v[56:57], v[56:57], s[12:13]
	v_mul_f64 v[64:65], v[36:37], s[2:3]
	v_fmac_f64_e32 v[66:67], s[28:29], v[48:49]
	v_mov_b64_e32 v[48:49], v[30:31]
	v_mul_f64 v[68:69], v[52:53], s[26:27]
	v_mul_f64 v[52:53], v[54:55], s[26:27]
	;; [unrolled: 1-line block ×3, first 2 shown]
	v_fmac_f64_e32 v[48:49], s[28:29], v[50:51]
	v_mul_f64 v[50:51], v[38:39], s[2:3]
	v_fma_f64 v[54:55], v[60:61], s[24:25], -v[64:65]
	v_fma_f64 v[60:61], v[60:61], s[18:19], -v[56:57]
	v_fmac_f64_e32 v[56:57], s[2:3], v[36:37]
	v_mul_f64 v[36:37], v[40:41], s[14:15]
	v_fma_f64 v[70:71], v[42:43], s[14:15], -v[52:53]
	v_fmac_f64_e32 v[52:53], s[16:17], v[46:47]
	v_fma_f64 v[50:51], v[62:63], s[24:25], -v[50:51]
	v_fma_f64 v[62:63], v[62:63], s[18:19], -v[58:59]
	v_fmac_f64_e32 v[58:59], s[2:3], v[38:39]
	v_mul_f64 v[38:39], v[42:43], s[14:15]
	v_fma_f64 v[64:65], v[40:41], s[14:15], -v[68:69]
	v_fmac_f64_e32 v[68:69], s[16:17], v[44:45]
	v_fma_f64 v[72:73], v[44:45], s[22:23], -v[36:37]
	v_add_f64 v[56:57], v[56:57], v[66:67]
	v_fmac_f64_e32 v[52:53], s[20:21], v[34:35]
	v_fma_f64 v[74:75], v[46:47], s[22:23], -v[38:39]
	v_fmac_f64_e32 v[68:69], s[20:21], v[32:33]
	v_fmac_f64_e32 v[64:65], s[20:21], v[32:33]
	;; [unrolled: 1-line block ×3, first 2 shown]
	v_add_f64 v[32:33], v[56:57], v[52:53]
	v_add_f64 v[52:53], v[56:57], -v[52:53]
	v_mul_lo_u16_e32 v56, 7, v112
	v_add_f64 v[58:59], v[58:59], v[48:49]
	v_add_f64 v[44:45], v[54:55], v[66:67]
	v_add_f64 v[46:47], v[50:51], v[48:49]
	v_add_f64 v[50:51], v[60:61], v[66:67]
	v_add_f64 v[54:55], v[62:63], v[48:49]
	v_fmac_f64_e32 v[70:71], s[20:21], v[34:35]
	v_fmac_f64_e32 v[74:75], s[20:21], v[34:35]
	v_lshl_add_u32 v118, v56, 4, v120
	v_add_f64 v[34:35], v[58:59], -v[68:69]
	v_add_f64 v[36:37], v[50:51], v[74:75]
	v_add_f64 v[38:39], v[54:55], -v[72:73]
	v_add_f64 v[40:41], v[44:45], -v[70:71]
	v_add_f64 v[42:43], v[64:65], v[46:47]
	v_add_f64 v[44:45], v[44:45], v[70:71]
	v_add_f64 v[46:47], v[46:47], -v[64:65]
	v_add_f64 v[48:49], v[50:51], -v[74:75]
	v_add_f64 v[50:51], v[72:73], v[54:55]
	v_add_f64 v[54:55], v[68:69], v[58:59]
	s_waitcnt lgkmcnt(0)
	; wave barrier
	ds_write_b128 v118, v[28:31]
	ds_write_b128 v118, v[32:35] offset:16
	ds_write_b128 v118, v[36:39] offset:32
	;; [unrolled: 1-line block ×6, first 2 shown]
	v_mov_b32_e32 v28, 37
	v_mul_lo_u16_sdwa v28, v112, v28 dst_sel:DWORD dst_unused:UNUSED_PAD src0_sel:BYTE_0 src1_sel:DWORD
	v_sub_u16_sdwa v29, v112, v28 dst_sel:DWORD dst_unused:UNUSED_PAD src0_sel:DWORD src1_sel:BYTE_1
	v_lshrrev_b16_e32 v29, 1, v29
	v_and_b32_e32 v29, 0x7f, v29
	v_add_u16_sdwa v28, v29, v28 dst_sel:DWORD dst_unused:UNUSED_PAD src0_sel:DWORD src1_sel:BYTE_1
	v_lshrrev_b16_e32 v108, 2, v28
	v_mul_lo_u16_e32 v28, 7, v108
	v_sub_u16_e32 v109, v112, v28
	v_mov_b32_e32 v28, 6
	v_mul_u32_u24_sdwa v28, v109, v28 dst_sel:DWORD dst_unused:UNUSED_PAD src0_sel:BYTE_0 src1_sel:DWORD
	v_lshlrev_b32_e32 v52, 4, v28
	s_waitcnt lgkmcnt(0)
	; wave barrier
	s_waitcnt lgkmcnt(0)
	global_load_dwordx4 v[40:43], v52, s[10:11]
	global_load_dwordx4 v[36:39], v52, s[10:11] offset:16
	global_load_dwordx4 v[32:35], v52, s[10:11] offset:32
	;; [unrolled: 1-line block ×5, first 2 shown]
	ds_read_b128 v[52:55], v115 offset:336
	ds_read_b128 v[56:59], v115 offset:672
	;; [unrolled: 1-line block ×3, first 2 shown]
	ds_read_b128 v[64:67], v115
	s_waitcnt vmcnt(5) lgkmcnt(3)
	v_mul_f64 v[68:69], v[54:55], v[42:43]
	v_fma_f64 v[68:69], v[52:53], v[40:41], -v[68:69]
	v_mul_f64 v[70:71], v[52:53], v[42:43]
	s_waitcnt vmcnt(4) lgkmcnt(2)
	v_mul_f64 v[52:53], v[58:59], v[38:39]
	v_fmac_f64_e32 v[70:71], v[54:55], v[40:41]
	v_fma_f64 v[72:73], v[56:57], v[36:37], -v[52:53]
	ds_read_b128 v[52:55], v115 offset:1344
	v_mul_f64 v[74:75], v[56:57], v[38:39]
	s_waitcnt vmcnt(3) lgkmcnt(2)
	v_mul_f64 v[56:57], v[62:63], v[34:35]
	v_fmac_f64_e32 v[74:75], v[58:59], v[36:37]
	v_fma_f64 v[76:77], v[60:61], v[32:33], -v[56:57]
	ds_read_b128 v[56:59], v115 offset:1680
	v_mul_f64 v[60:61], v[60:61], v[34:35]
	v_fmac_f64_e32 v[60:61], v[62:63], v[32:33]
	s_waitcnt vmcnt(2) lgkmcnt(1)
	v_mul_f64 v[62:63], v[54:55], v[30:31]
	v_mul_f64 v[78:79], v[52:53], v[30:31]
	v_fma_f64 v[62:63], v[52:53], v[28:29], -v[62:63]
	v_fmac_f64_e32 v[78:79], v[54:55], v[28:29]
	ds_read_b128 v[52:55], v115 offset:2016
	s_waitcnt vmcnt(1) lgkmcnt(1)
	v_mul_f64 v[80:81], v[58:59], v[46:47]
	v_fma_f64 v[80:81], v[56:57], v[44:45], -v[80:81]
	v_mul_f64 v[56:57], v[56:57], v[46:47]
	v_fmac_f64_e32 v[56:57], v[58:59], v[44:45]
	s_waitcnt vmcnt(0) lgkmcnt(0)
	v_mul_f64 v[58:59], v[54:55], v[50:51]
	v_fma_f64 v[58:59], v[52:53], v[48:49], -v[58:59]
	v_mul_f64 v[82:83], v[52:53], v[50:51]
	v_fmac_f64_e32 v[82:83], v[54:55], v[48:49]
	v_add_f64 v[84:85], v[68:69], v[58:59]
	v_add_f64 v[86:87], v[72:73], v[80:81]
	;; [unrolled: 1-line block ×12, first 2 shown]
	v_add_f64 v[64:65], v[68:69], -v[58:59]
	v_add_f64 v[58:59], v[72:73], -v[80:81]
	;; [unrolled: 1-line block ×6, first 2 shown]
	v_mov_b64_e32 v[72:73], v[52:53]
	v_mov_b64_e32 v[74:75], v[54:55]
	v_add_f64 v[76:77], v[86:87], -v[84:85]
	v_add_f64 v[78:79], v[88:89], -v[86:87]
	v_add_f64 v[60:61], v[68:69], v[58:59]
	v_add_f64 v[86:87], v[58:59], -v[64:65]
	v_add_f64 v[84:85], v[84:85], -v[88:89]
	;; [unrolled: 1-line block ×3, first 2 shown]
	v_fmac_f64_e32 v[72:73], s[28:29], v[90:91]
	v_fmac_f64_e32 v[74:75], s[28:29], v[98:99]
	v_add_f64 v[80:81], v[94:95], -v[92:93]
	v_add_f64 v[82:83], v[96:97], -v[94:95]
	;; [unrolled: 1-line block ×3, first 2 shown]
	v_add_f64 v[58:59], v[70:71], v[56:57]
	v_add_f64 v[90:91], v[70:71], -v[56:57]
	v_add_f64 v[94:95], v[56:57], -v[66:67]
	v_add_f64 v[98:99], v[60:61], v[64:65]
	v_mul_f64 v[56:57], v[78:79], s[2:3]
	v_add_f64 v[92:93], v[64:65], -v[68:69]
	v_mul_f64 v[84:85], v[84:85], s[12:13]
	v_mul_f64 v[88:89], v[88:89], s[12:13]
	;; [unrolled: 1-line block ×3, first 2 shown]
	v_fma_f64 v[56:57], v[76:77], s[24:25], -v[56:57]
	v_add_f64 v[96:97], v[66:67], -v[70:71]
	v_fma_f64 v[68:69], v[76:77], s[18:19], -v[84:85]
	v_fma_f64 v[70:71], v[80:81], s[18:19], -v[88:89]
	;; [unrolled: 1-line block ×3, first 2 shown]
	v_add_f64 v[100:101], v[58:59], v[66:67]
	v_mul_f64 v[90:91], v[90:91], s[26:27]
	v_mul_f64 v[58:59], v[82:83], s[2:3]
	;; [unrolled: 1-line block ×3, first 2 shown]
	v_add_f64 v[70:71], v[70:71], v[74:75]
	v_fmac_f64_e32 v[76:77], s[20:21], v[98:99]
	v_fma_f64 v[58:59], v[80:81], s[24:25], -v[58:59]
	v_fma_f64 v[106:107], v[94:95], s[14:15], -v[90:91]
	;; [unrolled: 1-line block ×3, first 2 shown]
	v_add_f64 v[66:67], v[70:71], -v[76:77]
	v_add_f64 v[70:71], v[76:77], v[70:71]
	v_fma_f64 v[76:77], s[2:3], v[78:79], v[84:85]
	v_fmac_f64_e32 v[90:91], s[16:17], v[96:97]
	v_mul_f64 v[102:103], v[62:63], s[26:27]
	v_add_f64 v[76:77], v[76:77], v[72:73]
	v_fmac_f64_e32 v[90:91], s[20:21], v[100:101]
	v_add_f64 v[60:61], v[56:57], v[72:73]
	v_fma_f64 v[104:105], v[86:87], s[14:15], -v[102:103]
	v_add_f64 v[68:69], v[68:69], v[72:73]
	v_add_f64 v[72:73], v[90:91], v[76:77]
	v_add_f64 v[84:85], v[76:77], -v[90:91]
	v_mul_u32_u24_e32 v76, 49, v108
	v_add_f64 v[62:63], v[58:59], v[74:75]
	v_fmac_f64_e32 v[104:105], s[20:21], v[98:99]
	v_fmac_f64_e32 v[106:107], s[20:21], v[100:101]
	;; [unrolled: 1-line block ×4, first 2 shown]
	v_fma_f64 v[78:79], s[16:17], v[92:93], v[102:103]
	v_add_u32_sdwa v76, v76, v109 dst_sel:DWORD dst_unused:UNUSED_PAD src0_sel:DWORD src1_sel:BYTE_0
	v_add_f64 v[56:57], v[60:61], -v[106:107]
	v_add_f64 v[58:59], v[104:105], v[62:63]
	v_add_f64 v[60:61], v[106:107], v[60:61]
	v_add_f64 v[62:63], v[62:63], -v[104:105]
	v_add_f64 v[64:65], v[80:81], v[68:69]
	v_add_f64 v[68:69], v[68:69], -v[80:81]
	v_add_f64 v[80:81], v[88:89], v[74:75]
	v_fmac_f64_e32 v[78:79], s[20:21], v[98:99]
	v_lshl_add_u32 v119, v76, 4, v120
	v_add_f64 v[74:75], v[80:81], -v[78:79]
	v_add_f64 v[86:87], v[78:79], v[80:81]
	s_waitcnt lgkmcnt(0)
	; wave barrier
	ds_write_b128 v119, v[52:55]
	ds_write_b128 v119, v[72:75] offset:112
	ds_write_b128 v119, v[64:67] offset:224
	;; [unrolled: 1-line block ×6, first 2 shown]
	s_waitcnt lgkmcnt(0)
	; wave barrier
	s_waitcnt lgkmcnt(0)
	ds_read_b128 v[76:79], v115
	ds_read_b128 v[88:91], v115 offset:336
	ds_read_b128 v[104:107], v115 offset:784
	;; [unrolled: 1-line block ×5, first 2 shown]
                                        ; implicit-def: $vgpr80_vgpr81
                                        ; implicit-def: $vgpr100_vgpr101
	s_and_saveexec_b64 s[2:3], vcc
	s_cbranch_execz .LBB0_3
; %bb.2:
	ds_read_b128 v[84:87], v115 offset:672
	ds_read_b128 v[80:83], v115 offset:1456
	;; [unrolled: 1-line block ×3, first 2 shown]
.LBB0_3:
	s_or_b64 exec, exec, s[2:3]
	v_lshlrev_b32_e32 v52, 5, v112
	global_load_dwordx4 v[64:67], v52, s[10:11] offset:672
	global_load_dwordx4 v[60:63], v52, s[10:11] offset:688
	v_add_u32_e32 v52, 0x2a0, v52
	global_load_dwordx4 v[72:75], v52, s[10:11] offset:672
	global_load_dwordx4 v[68:71], v52, s[10:11] offset:688
	v_lshl_add_u64 v[52:53], v[112:113], 0, 42
	v_lshl_add_u64 v[54:55], v[112:113], 0, -7
	v_cndmask_b32_e32 v53, v55, v53, vcc
	v_cndmask_b32_e32 v52, v54, v52, vcc
	v_lshlrev_b64 v[52:53], 5, v[52:53]
	v_lshl_add_u64 v[122:123], s[10:11], 0, v[52:53]
	global_load_dwordx4 v[56:59], v[122:123], off offset:672
	global_load_dwordx4 v[52:55], v[122:123], off offset:688
	v_lshl_add_u32 v113, v112, 4, v120
	s_mov_b32 s2, 0xe8584caa
	s_mov_b32 s3, 0x3febb67a
	;; [unrolled: 1-line block ×4, first 2 shown]
	v_lshl_add_u64 v[116:117], s[8:9], 0, v[116:117]
	s_waitcnt vmcnt(5) lgkmcnt(3)
	v_mul_f64 v[120:121], v[106:107], v[66:67]
	v_mul_f64 v[122:123], v[104:105], v[66:67]
	s_waitcnt vmcnt(4) lgkmcnt(1)
	v_mul_f64 v[124:125], v[110:111], v[62:63]
	v_mul_f64 v[126:127], v[108:109], v[62:63]
	v_fma_f64 v[104:105], v[104:105], v[64:65], -v[120:121]
	v_fmac_f64_e32 v[122:123], v[106:107], v[64:65]
	v_fma_f64 v[106:107], v[108:109], v[60:61], -v[124:125]
	v_fmac_f64_e32 v[126:127], v[110:111], v[60:61]
	s_waitcnt vmcnt(3)
	v_mul_f64 v[110:111], v[92:93], v[74:75]
	s_waitcnt vmcnt(2) lgkmcnt(0)
	v_mul_f64 v[120:121], v[98:99], v[70:71]
	v_mul_f64 v[124:125], v[96:97], v[70:71]
	;; [unrolled: 1-line block ×3, first 2 shown]
	v_fmac_f64_e32 v[110:111], v[94:95], v[72:73]
	v_fma_f64 v[120:121], v[96:97], v[68:69], -v[120:121]
	v_fmac_f64_e32 v[124:125], v[98:99], v[68:69]
	v_add_f64 v[96:97], v[76:77], v[104:105]
	v_add_f64 v[130:131], v[78:79], v[122:123]
	v_fma_f64 v[108:109], v[92:93], v[72:73], -v[108:109]
	v_add_f64 v[98:99], v[104:105], v[106:107]
	v_add_f64 v[128:129], v[122:123], -v[126:127]
	v_add_f64 v[122:123], v[122:123], v[126:127]
	v_add_f64 v[132:133], v[104:105], -v[106:107]
	s_waitcnt vmcnt(1)
	v_mul_f64 v[134:135], v[82:83], v[58:59]
	v_mul_f64 v[92:93], v[80:81], v[58:59]
	s_waitcnt vmcnt(0)
	v_mul_f64 v[136:137], v[102:103], v[54:55]
	v_mul_f64 v[94:95], v[100:101], v[54:55]
	v_add_f64 v[104:105], v[96:97], v[106:107]
	v_add_f64 v[106:107], v[130:131], v[126:127]
	v_add_f64 v[130:131], v[110:111], -v[124:125]
	v_add_f64 v[138:139], v[90:91], v[110:111]
	v_add_f64 v[110:111], v[110:111], v[124:125]
	v_fmac_f64_e32 v[76:77], -0.5, v[98:99]
	v_fmac_f64_e32 v[78:79], -0.5, v[122:123]
	v_add_f64 v[122:123], v[88:89], v[108:109]
	v_add_f64 v[126:127], v[108:109], v[120:121]
	v_add_f64 v[108:109], v[108:109], -v[120:121]
	v_fma_f64 v[96:97], v[80:81], v[56:57], -v[134:135]
	v_fmac_f64_e32 v[92:93], v[82:83], v[56:57]
	v_fma_f64 v[98:99], v[100:101], v[52:53], -v[136:137]
	v_fmac_f64_e32 v[94:95], v[102:103], v[52:53]
	v_fmac_f64_e32 v[90:91], -0.5, v[110:111]
	v_fma_f64 v[80:81], s[2:3], v[128:129], v[76:77]
	v_fma_f64 v[82:83], s[10:11], v[132:133], v[78:79]
	v_add_f64 v[100:101], v[122:123], v[120:121]
	ds_write_b128 v115, v[104:107]
	v_fma_f64 v[106:107], s[10:11], v[108:109], v[90:91]
	v_fmac_f64_e32 v[90:91], s[2:3], v[108:109]
	v_add_f64 v[108:109], v[96:97], v[98:99]
	v_add_f64 v[120:121], v[92:93], v[94:95]
	v_fmac_f64_e32 v[76:77], s[10:11], v[128:129]
	v_fmac_f64_e32 v[78:79], s[2:3], v[132:133]
	v_fmac_f64_e32 v[88:89], -0.5, v[126:127]
	v_add_f64 v[102:103], v[138:139], v[124:125]
	v_add_f64 v[110:111], v[92:93], -v[94:95]
	v_add_f64 v[122:123], v[96:97], -v[98:99]
	ds_write_b128 v113, v[80:83] offset:784
	ds_write_b128 v113, v[76:79] offset:1568
	;; [unrolled: 1-line block ×3, first 2 shown]
	v_fma_f64 v[80:81], -0.5, v[108:109], v[84:85]
	v_fma_f64 v[82:83], -0.5, v[120:121], v[86:87]
	v_fma_f64 v[104:105], s[2:3], v[130:131], v[88:89]
	v_fmac_f64_e32 v[88:89], s[10:11], v[130:131]
	v_fma_f64 v[76:77], s[2:3], v[110:111], v[80:81]
	v_fmac_f64_e32 v[80:81], s[10:11], v[110:111]
	;; [unrolled: 2-line block ×3, first 2 shown]
	ds_write_b128 v115, v[104:107] offset:1120
	ds_write_b128 v115, v[88:91] offset:1904
	s_and_saveexec_b64 s[2:3], vcc
	s_cbranch_execz .LBB0_5
; %bb.4:
	v_add_f64 v[86:87], v[86:87], v[92:93]
	v_add_f64 v[84:85], v[84:85], v[96:97]
	;; [unrolled: 1-line block ×4, first 2 shown]
	ds_write_b128 v115, v[84:87] offset:672
	ds_write_b128 v113, v[76:79] offset:1456
	;; [unrolled: 1-line block ×3, first 2 shown]
.LBB0_5:
	s_or_b64 exec, exec, s[2:3]
	s_waitcnt lgkmcnt(0)
	; wave barrier
	s_waitcnt lgkmcnt(0)
	global_load_dwordx4 v[84:87], v[116:117], off offset:2352
	s_add_u32 s2, s8, 0x930
	s_addc_u32 s3, s9, 0
	v_lshlrev_b32_e32 v116, 4, v112
	global_load_dwordx4 v[88:91], v116, s[2:3] offset:336
	global_load_dwordx4 v[92:95], v116, s[2:3] offset:672
	global_load_dwordx4 v[96:99], v116, s[2:3] offset:1008
	global_load_dwordx4 v[100:103], v116, s[2:3] offset:1344
	global_load_dwordx4 v[104:107], v116, s[2:3] offset:1680
	global_load_dwordx4 v[108:111], v116, s[2:3] offset:2016
	ds_read_b128 v[120:123], v115
	ds_read_b128 v[124:127], v115 offset:336
	ds_read_b128 v[128:131], v115 offset:672
	;; [unrolled: 1-line block ×6, first 2 shown]
	s_mov_b32 s8, 0x37e14327
	s_mov_b32 s2, 0x36b3c0b5
	;; [unrolled: 1-line block ×19, first 2 shown]
	s_waitcnt vmcnt(6) lgkmcnt(6)
	v_mul_f64 v[116:117], v[122:123], v[86:87]
	v_mul_f64 v[150:151], v[120:121], v[86:87]
	v_fma_f64 v[148:149], v[120:121], v[84:85], -v[116:117]
	v_fmac_f64_e32 v[150:151], v[122:123], v[84:85]
	ds_write_b128 v115, v[148:151]
	s_waitcnt vmcnt(5) lgkmcnt(6)
	v_mul_f64 v[84:85], v[126:127], v[90:91]
	v_mul_f64 v[86:87], v[124:125], v[90:91]
	s_waitcnt vmcnt(4) lgkmcnt(5)
	v_mul_f64 v[116:117], v[130:131], v[94:95]
	v_mul_f64 v[90:91], v[128:129], v[94:95]
	;; [unrolled: 3-line block ×6, first 2 shown]
	v_fma_f64 v[84:85], v[124:125], v[88:89], -v[84:85]
	v_fmac_f64_e32 v[86:87], v[126:127], v[88:89]
	v_fma_f64 v[88:89], v[128:129], v[92:93], -v[116:117]
	v_fmac_f64_e32 v[90:91], v[130:131], v[92:93]
	;; [unrolled: 2-line block ×6, first 2 shown]
	ds_write_b128 v115, v[84:87] offset:336
	ds_write_b128 v115, v[88:91] offset:672
	;; [unrolled: 1-line block ×6, first 2 shown]
	s_waitcnt lgkmcnt(0)
	; wave barrier
	s_waitcnt lgkmcnt(0)
	ds_read_b128 v[84:87], v115
	ds_read_b128 v[88:91], v115 offset:336
	ds_read_b128 v[92:95], v115 offset:2016
	;; [unrolled: 1-line block ×6, first 2 shown]
	s_waitcnt lgkmcnt(4)
	v_add_f64 v[116:117], v[88:89], v[92:93]
	v_add_f64 v[88:89], v[88:89], -v[92:93]
	v_add_f64 v[120:121], v[90:91], v[94:95]
	v_add_f64 v[90:91], v[90:91], -v[94:95]
	s_waitcnt lgkmcnt(0)
	v_add_f64 v[92:93], v[96:97], v[108:109]
	v_add_f64 v[94:95], v[98:99], v[110:111]
	v_add_f64 v[96:97], v[96:97], -v[108:109]
	v_add_f64 v[108:109], v[100:101], v[104:105]
	v_add_f64 v[100:101], v[104:105], -v[100:101]
	;; [unrolled: 2-line block ×4, first 2 shown]
	v_add_f64 v[106:107], v[94:95], v[120:121]
	v_add_f64 v[104:105], v[108:109], v[104:105]
	v_add_f64 v[106:107], v[110:111], v[106:107]
	v_add_f64 v[84:85], v[84:85], v[104:105]
	v_add_f64 v[122:123], v[92:93], -v[116:117]
	v_add_f64 v[124:125], v[94:95], -v[120:121]
	;; [unrolled: 1-line block ×6, first 2 shown]
	v_add_f64 v[126:127], v[100:101], v[96:97]
	v_add_f64 v[128:129], v[102:103], v[98:99]
	v_add_f64 v[130:131], v[100:101], -v[96:97]
	v_add_f64 v[132:133], v[102:103], -v[98:99]
	;; [unrolled: 1-line block ×4, first 2 shown]
	v_add_f64 v[86:87], v[86:87], v[106:107]
	v_mov_b64_e32 v[134:135], v[84:85]
	v_add_f64 v[100:101], v[88:89], -v[100:101]
	v_add_f64 v[102:103], v[90:91], -v[102:103]
	v_add_f64 v[88:89], v[126:127], v[88:89]
	v_add_f64 v[90:91], v[128:129], v[90:91]
	v_mul_f64 v[108:109], v[116:117], s[8:9]
	v_mul_f64 v[110:111], v[120:121], s[8:9]
	;; [unrolled: 1-line block ×8, first 2 shown]
	v_fmac_f64_e32 v[134:135], s[14:15], v[104:105]
	v_mov_b64_e32 v[104:105], v[86:87]
	v_fmac_f64_e32 v[104:105], s[14:15], v[106:107]
	v_fma_f64 v[106:107], v[122:123], s[16:17], -v[116:117]
	v_fma_f64 v[116:117], v[124:125], s[16:17], -v[120:121]
	;; [unrolled: 1-line block ×3, first 2 shown]
	v_fmac_f64_e32 v[108:109], s[2:3], v[92:93]
	v_fma_f64 v[92:93], v[124:125], s[18:19], -v[110:111]
	v_fmac_f64_e32 v[110:111], s[2:3], v[94:95]
	v_fma_f64 v[122:123], v[96:97], s[10:11], -v[126:127]
	;; [unrolled: 2-line block ×4, first 2 shown]
	v_fma_f64 v[132:133], v[102:103], s[24:25], -v[132:133]
	v_add_f64 v[108:109], v[108:109], v[134:135]
	v_add_f64 v[110:111], v[110:111], v[104:105]
	;; [unrolled: 1-line block ×6, first 2 shown]
	v_fmac_f64_e32 v[126:127], s[22:23], v[88:89]
	v_fmac_f64_e32 v[128:129], s[22:23], v[90:91]
	;; [unrolled: 1-line block ×6, first 2 shown]
	v_add_f64 v[88:89], v[108:109], v[128:129]
	v_add_f64 v[90:91], v[110:111], -v[126:127]
	v_add_f64 v[92:93], v[106:107], v[132:133]
	v_add_f64 v[94:95], v[116:117], -v[130:131]
	v_add_f64 v[96:97], v[100:101], -v[124:125]
	v_add_f64 v[98:99], v[122:123], v[102:103]
	v_add_f64 v[100:101], v[100:101], v[124:125]
	v_add_f64 v[102:103], v[102:103], -v[122:123]
	v_add_f64 v[104:105], v[106:107], -v[132:133]
	v_add_f64 v[106:107], v[130:131], v[116:117]
	v_add_f64 v[108:109], v[108:109], -v[128:129]
	v_add_f64 v[110:111], v[126:127], v[110:111]
	s_waitcnt lgkmcnt(0)
	; wave barrier
	ds_write_b128 v118, v[84:87]
	ds_write_b128 v118, v[88:91] offset:16
	ds_write_b128 v118, v[92:95] offset:32
	;; [unrolled: 1-line block ×6, first 2 shown]
	s_waitcnt lgkmcnt(0)
	; wave barrier
	s_waitcnt lgkmcnt(0)
	ds_read_b128 v[84:87], v115
	ds_read_b128 v[88:91], v115 offset:336
	ds_read_b128 v[92:95], v115 offset:672
	;; [unrolled: 1-line block ×6, first 2 shown]
	s_waitcnt lgkmcnt(5)
	v_mul_f64 v[116:117], v[42:43], v[90:91]
	v_mul_f64 v[42:43], v[42:43], v[88:89]
	v_fmac_f64_e32 v[116:117], v[40:41], v[88:89]
	v_fma_f64 v[40:41], v[40:41], v[90:91], -v[42:43]
	s_waitcnt lgkmcnt(4)
	v_mul_f64 v[42:43], v[38:39], v[94:95]
	v_mul_f64 v[38:39], v[38:39], v[92:93]
	v_fmac_f64_e32 v[42:43], v[36:37], v[92:93]
	v_fma_f64 v[36:37], v[36:37], v[94:95], -v[38:39]
	;; [unrolled: 5-line block ×6, first 2 shown]
	v_add_f64 v[50:51], v[116:117], v[46:47]
	v_add_f64 v[88:89], v[40:41], v[48:49]
	v_add_f64 v[40:41], v[40:41], -v[48:49]
	v_add_f64 v[48:49], v[42:43], v[30:31]
	v_add_f64 v[90:91], v[36:37], v[44:45]
	v_add_f64 v[30:31], v[42:43], -v[30:31]
	v_add_f64 v[36:37], v[36:37], -v[44:45]
	v_add_f64 v[42:43], v[38:39], v[34:35]
	v_add_f64 v[44:45], v[32:33], v[28:29]
	v_add_f64 v[28:29], v[28:29], -v[32:33]
	v_add_f64 v[32:33], v[48:49], v[50:51]
	v_add_f64 v[34:35], v[34:35], -v[38:39]
	v_add_f64 v[38:39], v[90:91], v[88:89]
	v_add_f64 v[92:93], v[48:49], -v[50:51]
	v_add_f64 v[50:51], v[50:51], -v[42:43]
	v_add_f64 v[48:49], v[42:43], -v[48:49]
	v_add_f64 v[42:43], v[42:43], v[32:33]
	v_add_f64 v[46:47], v[116:117], -v[46:47]
	v_add_f64 v[96:97], v[34:35], v[30:31]
	;; [unrolled: 2-line block ×3, first 2 shown]
	v_add_f64 v[32:33], v[84:85], v[42:43]
	v_add_f64 v[94:95], v[90:91], -v[88:89]
	v_add_f64 v[88:89], v[88:89], -v[44:45]
	;; [unrolled: 1-line block ×3, first 2 shown]
	v_add_f64 v[98:99], v[28:29], v[36:37]
	v_add_f64 v[100:101], v[34:35], -v[30:31]
	v_add_f64 v[104:105], v[46:47], -v[34:35]
	v_add_f64 v[30:31], v[30:31], -v[46:47]
	v_add_f64 v[36:37], v[36:37], -v[40:41]
	v_add_f64 v[44:45], v[96:97], v[46:47]
	v_add_f64 v[34:35], v[86:87], v[38:39]
	v_mul_f64 v[96:97], v[102:103], s[12:13]
	v_mov_b64_e32 v[102:103], v[32:33]
	v_add_f64 v[28:29], v[40:41], -v[28:29]
	v_add_f64 v[40:41], v[98:99], v[40:41]
	v_mul_f64 v[46:47], v[50:51], s[8:9]
	v_mul_f64 v[50:51], v[88:89], s[8:9]
	;; [unrolled: 1-line block ×7, first 2 shown]
	v_fmac_f64_e32 v[102:103], s[14:15], v[42:43]
	v_mov_b64_e32 v[42:43], v[34:35]
	v_fmac_f64_e32 v[42:43], s[14:15], v[38:39]
	v_fma_f64 v[38:39], s[2:3], v[48:49], v[46:47]
	v_fma_f64 v[48:49], v[92:93], s[16:17], -v[84:85]
	v_fma_f64 v[84:85], v[94:95], s[16:17], -v[86:87]
	;; [unrolled: 1-line block ×4, first 2 shown]
	v_fmac_f64_e32 v[50:51], s[2:3], v[90:91]
	v_fma_f64 v[90:91], s[20:21], v[104:105], v[88:89]
	v_fma_f64 v[30:31], v[30:31], s[10:11], -v[88:89]
	v_fma_f64 v[88:89], v[36:37], s[10:11], -v[96:97]
	v_fmac_f64_e32 v[96:97], s[20:21], v[28:29]
	v_fma_f64 v[92:93], v[104:105], s[24:25], -v[98:99]
	v_fma_f64 v[28:29], v[28:29], s[24:25], -v[100:101]
	v_add_f64 v[94:95], v[38:39], v[102:103]
	v_add_f64 v[98:99], v[50:51], v[42:43]
	;; [unrolled: 1-line block ×6, first 2 shown]
	v_fmac_f64_e32 v[90:91], s[22:23], v[44:45]
	v_fmac_f64_e32 v[96:97], s[22:23], v[40:41]
	;; [unrolled: 1-line block ×6, first 2 shown]
	v_add_f64 v[36:37], v[96:97], v[94:95]
	v_add_f64 v[38:39], v[98:99], -v[90:91]
	v_add_f64 v[40:41], v[28:29], v[84:85]
	v_add_f64 v[42:43], v[86:87], -v[92:93]
	v_add_f64 v[44:45], v[48:49], -v[88:89]
	v_add_f64 v[46:47], v[30:31], v[50:51]
	v_add_f64 v[48:49], v[88:89], v[48:49]
	v_add_f64 v[50:51], v[50:51], -v[30:31]
	v_add_f64 v[84:85], v[84:85], -v[28:29]
	v_add_f64 v[86:87], v[92:93], v[86:87]
	v_add_f64 v[28:29], v[94:95], -v[96:97]
	v_add_f64 v[30:31], v[90:91], v[98:99]
	s_waitcnt lgkmcnt(0)
	; wave barrier
	ds_write_b128 v119, v[32:35]
	ds_write_b128 v119, v[36:39] offset:112
	ds_write_b128 v119, v[40:43] offset:224
	;; [unrolled: 1-line block ×6, first 2 shown]
	s_waitcnt lgkmcnt(0)
	; wave barrier
	s_waitcnt lgkmcnt(0)
	ds_read_b128 v[36:39], v115
	ds_read_b128 v[32:35], v115 offset:336
	ds_read_b128 v[84:87], v115 offset:784
	;; [unrolled: 1-line block ×5, first 2 shown]
	v_add_u32_e32 v88, 0x150, v115
	s_and_saveexec_b64 s[2:3], vcc
	s_cbranch_execz .LBB0_7
; %bb.6:
	ds_read_b128 v[28:31], v115 offset:672
	ds_read_b128 v[76:79], v115 offset:1456
	;; [unrolled: 1-line block ×3, first 2 shown]
.LBB0_7:
	s_or_b64 exec, exec, s[2:3]
	s_waitcnt lgkmcnt(3)
	v_mul_f64 v[90:91], v[66:67], v[86:87]
	v_mul_f64 v[66:67], v[66:67], v[84:85]
	v_fmac_f64_e32 v[90:91], v[64:65], v[84:85]
	v_fma_f64 v[64:65], v[64:65], v[86:87], -v[66:67]
	s_waitcnt lgkmcnt(1)
	v_mul_f64 v[66:67], v[62:63], v[50:51]
	v_fmac_f64_e32 v[66:67], v[60:61], v[48:49]
	v_mul_f64 v[48:49], v[62:63], v[48:49]
	v_mul_f64 v[62:63], v[74:75], v[46:47]
	v_fmac_f64_e32 v[62:63], v[72:73], v[44:45]
	v_mul_f64 v[44:45], v[74:75], v[44:45]
	s_waitcnt lgkmcnt(0)
	v_mul_f64 v[74:75], v[70:71], v[42:43]
	v_fmac_f64_e32 v[74:75], v[68:69], v[40:41]
	v_mul_f64 v[40:41], v[70:71], v[40:41]
	v_fma_f64 v[48:49], v[60:61], v[50:51], -v[48:49]
	v_fma_f64 v[68:69], v[68:69], v[42:43], -v[40:41]
	v_add_f64 v[42:43], v[90:91], v[66:67]
	s_mov_b32 s2, 0xe8584caa
	v_add_f64 v[40:41], v[36:37], v[90:91]
	v_fmac_f64_e32 v[36:37], -0.5, v[42:43]
	v_add_f64 v[42:43], v[64:65], -v[48:49]
	s_mov_b32 s3, 0xbfebb67a
	s_mov_b32 s9, 0x3febb67a
	;; [unrolled: 1-line block ×3, first 2 shown]
	v_fma_f64 v[72:73], v[72:73], v[46:47], -v[44:45]
	v_fma_f64 v[44:45], s[2:3], v[42:43], v[36:37]
	v_fmac_f64_e32 v[36:37], s[8:9], v[42:43]
	v_add_f64 v[42:43], v[38:39], v[64:65]
	v_add_f64 v[46:47], v[64:65], v[48:49]
	v_add_f64 v[42:43], v[42:43], v[48:49]
	v_fmac_f64_e32 v[38:39], -0.5, v[46:47]
	v_add_f64 v[48:49], v[90:91], -v[66:67]
	v_add_f64 v[50:51], v[62:63], v[74:75]
	v_fma_f64 v[46:47], s[8:9], v[48:49], v[38:39]
	v_fmac_f64_e32 v[38:39], s[2:3], v[48:49]
	v_add_f64 v[48:49], v[32:33], v[62:63]
	v_fmac_f64_e32 v[32:33], -0.5, v[50:51]
	v_add_f64 v[50:51], v[72:73], -v[68:69]
	v_add_f64 v[64:65], v[72:73], v[68:69]
	v_add_f64 v[40:41], v[40:41], v[66:67]
	v_fma_f64 v[60:61], s[2:3], v[50:51], v[32:33]
	v_fmac_f64_e32 v[32:33], s[8:9], v[50:51]
	v_add_f64 v[50:51], v[34:35], v[72:73]
	v_fmac_f64_e32 v[34:35], -0.5, v[64:65]
	v_add_f64 v[64:65], v[62:63], -v[74:75]
	v_add_f64 v[48:49], v[48:49], v[74:75]
	v_add_f64 v[50:51], v[50:51], v[68:69]
	v_fma_f64 v[62:63], s[8:9], v[64:65], v[34:35]
	v_fmac_f64_e32 v[34:35], s[2:3], v[64:65]
	ds_write_b128 v115, v[40:43]
	ds_write_b128 v113, v[44:47] offset:784
	ds_write_b128 v113, v[36:39] offset:1568
	;; [unrolled: 1-line block ×5, first 2 shown]
	s_and_saveexec_b64 s[10:11], vcc
	s_cbranch_execz .LBB0_9
; %bb.8:
	v_mul_f64 v[32:33], v[58:59], v[76:77]
	v_fma_f64 v[34:35], v[56:57], v[78:79], -v[32:33]
	v_mul_f64 v[32:33], v[54:55], v[80:81]
	v_fma_f64 v[38:39], v[52:53], v[82:83], -v[32:33]
	v_mul_f64 v[42:43], v[58:59], v[78:79]
	v_mul_f64 v[44:45], v[54:55], v[82:83]
	v_add_f64 v[32:33], v[34:35], v[38:39]
	v_fmac_f64_e32 v[42:43], v[56:57], v[76:77]
	v_fmac_f64_e32 v[44:45], v[52:53], v[80:81]
	v_fma_f64 v[32:33], -0.5, v[32:33], v[30:31]
	v_add_f64 v[40:41], v[42:43], -v[44:45]
	v_add_f64 v[30:31], v[30:31], v[34:35]
	v_fma_f64 v[36:37], s[2:3], v[40:41], v[32:33]
	v_fmac_f64_e32 v[32:33], s[8:9], v[40:41]
	v_add_f64 v[40:41], v[30:31], v[38:39]
	v_add_f64 v[30:31], v[42:43], v[44:45]
	v_fma_f64 v[30:31], -0.5, v[30:31], v[28:29]
	v_add_f64 v[38:39], v[34:35], -v[38:39]
	v_add_f64 v[28:29], v[28:29], v[42:43]
	v_fma_f64 v[34:35], s[8:9], v[38:39], v[30:31]
	v_fmac_f64_e32 v[30:31], s[2:3], v[38:39]
	v_add_f64 v[38:39], v[28:29], v[44:45]
	ds_write_b128 v115, v[38:41] offset:672
	ds_write_b128 v113, v[30:33] offset:1456
	;; [unrolled: 1-line block ×3, first 2 shown]
.LBB0_9:
	s_or_b64 exec, exec, s[10:11]
	s_waitcnt lgkmcnt(0)
	; wave barrier
	s_waitcnt lgkmcnt(0)
	ds_read_b128 v[28:31], v115
	v_mov_b32_e32 v40, s0
	v_mov_b32_e32 v41, s1
	v_mad_u64_u32 v[42:43], s[0:1], s6, v114, 0
	v_mov_b32_e32 v32, v43
	v_mad_u64_u32 v[32:33], s[0:1], s7, v114, v[32:33]
	v_mov_b32_e32 v43, v32
	ds_read_b128 v[32:35], v115 offset:336
	s_waitcnt lgkmcnt(1)
	v_mul_f64 v[36:37], v[26:27], v[30:31]
	s_mov_b32 s0, 0x899406f7
	v_mul_f64 v[26:27], v[26:27], v[28:29]
	v_fmac_f64_e32 v[36:37], v[24:25], v[28:29]
	s_mov_b32 s1, 0x3f7bdd2b
	v_fma_f64 v[24:25], v[24:25], v[30:31], -v[26:27]
	v_mul_f64 v[38:39], v[24:25], s[0:1]
	v_mad_u64_u32 v[24:25], s[2:3], s4, v112, 0
	v_mov_b32_e32 v26, v25
	v_mad_u64_u32 v[26:27], s[2:3], s5, v112, v[26:27]
	v_mov_b32_e32 v25, v26
	v_lshl_add_u64 v[26:27], v[42:43], 4, v[40:41]
	v_lshl_add_u64 v[28:29], v[24:25], 4, v[26:27]
	s_waitcnt lgkmcnt(0)
	v_mul_f64 v[24:25], v[18:19], v[34:35]
	v_mul_f64 v[18:19], v[18:19], v[32:33]
	v_fmac_f64_e32 v[24:25], v[16:17], v[32:33]
	v_fma_f64 v[16:17], v[16:17], v[34:35], -v[18:19]
	v_mov_b32_e32 v34, 0x150
	v_mul_f64 v[26:27], v[16:17], s[0:1]
	v_mad_u64_u32 v[32:33], s[2:3], s4, v34, v[28:29]
	ds_read_b128 v[16:19], v115 offset:672
	s_mulk_i32 s5, 0x150
	v_mul_f64 v[36:37], v[36:37], s[0:1]
	v_mul_f64 v[24:25], v[24:25], s[0:1]
	v_add_u32_e32 v33, s5, v33
	global_store_dwordx4 v[28:29], v[36:39], off
	global_store_dwordx4 v[32:33], v[24:27], off
	ds_read_b128 v[24:27], v115 offset:1008
	s_waitcnt lgkmcnt(1)
	v_mul_f64 v[28:29], v[2:3], v[18:19]
	v_mul_f64 v[2:3], v[2:3], v[16:17]
	v_fmac_f64_e32 v[28:29], v[0:1], v[16:17]
	v_fma_f64 v[0:1], v[0:1], v[18:19], -v[2:3]
	v_mad_u64_u32 v[32:33], s[2:3], s4, v34, v[32:33]
	v_mul_f64 v[30:31], v[0:1], s[0:1]
	v_add_u32_e32 v33, s5, v33
	s_waitcnt lgkmcnt(0)
	v_mul_f64 v[0:1], v[22:23], v[26:27]
	v_mul_f64 v[2:3], v[22:23], v[24:25]
	v_fmac_f64_e32 v[0:1], v[20:21], v[24:25]
	v_fma_f64 v[2:3], v[20:21], v[26:27], -v[2:3]
	ds_read_b128 v[16:19], v115 offset:1344
	v_mad_u64_u32 v[24:25], s[2:3], s4, v34, v[32:33]
	v_mul_f64 v[28:29], v[28:29], s[0:1]
	v_mul_f64 v[0:1], v[0:1], s[0:1]
	v_mul_f64 v[2:3], v[2:3], s[0:1]
	v_add_u32_e32 v25, s5, v25
	global_store_dwordx4 v[32:33], v[28:31], off
	global_store_dwordx4 v[24:25], v[0:3], off
	ds_read_b128 v[0:3], v115 offset:1680
	s_waitcnt lgkmcnt(1)
	v_mul_f64 v[20:21], v[6:7], v[18:19]
	v_mul_f64 v[6:7], v[6:7], v[16:17]
	v_fmac_f64_e32 v[20:21], v[4:5], v[16:17]
	v_fma_f64 v[4:5], v[4:5], v[18:19], -v[6:7]
	v_mul_f64 v[22:23], v[4:5], s[0:1]
	s_waitcnt lgkmcnt(0)
	v_mul_f64 v[4:5], v[10:11], v[2:3]
	v_fmac_f64_e32 v[4:5], v[8:9], v[0:1]
	v_mul_f64 v[0:1], v[10:11], v[0:1]
	v_fma_f64 v[0:1], v[8:9], v[2:3], -v[0:1]
	v_mul_f64 v[6:7], v[0:1], s[0:1]
	ds_read_b128 v[0:3], v115 offset:2016
	v_mad_u64_u32 v[16:17], s[2:3], s4, v34, v[24:25]
	v_add_u32_e32 v17, s5, v17
	v_mad_u64_u32 v[8:9], s[2:3], s4, v34, v[16:17]
	v_mul_f64 v[20:21], v[20:21], s[0:1]
	v_mul_f64 v[4:5], v[4:5], s[0:1]
	v_add_u32_e32 v9, s5, v9
	global_store_dwordx4 v[16:17], v[20:23], off
	global_store_dwordx4 v[8:9], v[4:7], off
	s_waitcnt lgkmcnt(0)
	s_nop 0
	v_mul_f64 v[4:5], v[14:15], v[2:3]
	v_fmac_f64_e32 v[4:5], v[12:13], v[0:1]
	v_mul_f64 v[0:1], v[14:15], v[0:1]
	v_fma_f64 v[0:1], v[12:13], v[2:3], -v[0:1]
	v_mul_f64 v[4:5], v[4:5], s[0:1]
	v_mul_f64 v[6:7], v[0:1], s[0:1]
	v_mad_u64_u32 v[0:1], s[0:1], s4, v34, v[8:9]
	v_add_u32_e32 v1, s5, v1
	global_store_dwordx4 v[0:1], v[4:7], off
.LBB0_10:
	s_endpgm
	.section	.rodata,"a",@progbits
	.p2align	6, 0x0
	.amdhsa_kernel bluestein_single_fwd_len147_dim1_dp_op_CI_CI
		.amdhsa_group_segment_fixed_size 7056
		.amdhsa_private_segment_fixed_size 0
		.amdhsa_kernarg_size 104
		.amdhsa_user_sgpr_count 2
		.amdhsa_user_sgpr_dispatch_ptr 0
		.amdhsa_user_sgpr_queue_ptr 0
		.amdhsa_user_sgpr_kernarg_segment_ptr 1
		.amdhsa_user_sgpr_dispatch_id 0
		.amdhsa_user_sgpr_kernarg_preload_length 0
		.amdhsa_user_sgpr_kernarg_preload_offset 0
		.amdhsa_user_sgpr_private_segment_size 0
		.amdhsa_uses_dynamic_stack 0
		.amdhsa_enable_private_segment 0
		.amdhsa_system_sgpr_workgroup_id_x 1
		.amdhsa_system_sgpr_workgroup_id_y 0
		.amdhsa_system_sgpr_workgroup_id_z 0
		.amdhsa_system_sgpr_workgroup_info 0
		.amdhsa_system_vgpr_workitem_id 0
		.amdhsa_next_free_vgpr 152
		.amdhsa_next_free_sgpr 30
		.amdhsa_accum_offset 152
		.amdhsa_reserve_vcc 1
		.amdhsa_float_round_mode_32 0
		.amdhsa_float_round_mode_16_64 0
		.amdhsa_float_denorm_mode_32 3
		.amdhsa_float_denorm_mode_16_64 3
		.amdhsa_dx10_clamp 1
		.amdhsa_ieee_mode 1
		.amdhsa_fp16_overflow 0
		.amdhsa_tg_split 0
		.amdhsa_exception_fp_ieee_invalid_op 0
		.amdhsa_exception_fp_denorm_src 0
		.amdhsa_exception_fp_ieee_div_zero 0
		.amdhsa_exception_fp_ieee_overflow 0
		.amdhsa_exception_fp_ieee_underflow 0
		.amdhsa_exception_fp_ieee_inexact 0
		.amdhsa_exception_int_div_zero 0
	.end_amdhsa_kernel
	.text
.Lfunc_end0:
	.size	bluestein_single_fwd_len147_dim1_dp_op_CI_CI, .Lfunc_end0-bluestein_single_fwd_len147_dim1_dp_op_CI_CI
                                        ; -- End function
	.section	.AMDGPU.csdata,"",@progbits
; Kernel info:
; codeLenInByte = 7024
; NumSgprs: 36
; NumVgprs: 152
; NumAgprs: 0
; TotalNumVgprs: 152
; ScratchSize: 0
; MemoryBound: 0
; FloatMode: 240
; IeeeMode: 1
; LDSByteSize: 7056 bytes/workgroup (compile time only)
; SGPRBlocks: 4
; VGPRBlocks: 18
; NumSGPRsForWavesPerEU: 36
; NumVGPRsForWavesPerEU: 152
; AccumOffset: 152
; Occupancy: 3
; WaveLimiterHint : 1
; COMPUTE_PGM_RSRC2:SCRATCH_EN: 0
; COMPUTE_PGM_RSRC2:USER_SGPR: 2
; COMPUTE_PGM_RSRC2:TRAP_HANDLER: 0
; COMPUTE_PGM_RSRC2:TGID_X_EN: 1
; COMPUTE_PGM_RSRC2:TGID_Y_EN: 0
; COMPUTE_PGM_RSRC2:TGID_Z_EN: 0
; COMPUTE_PGM_RSRC2:TIDIG_COMP_CNT: 0
; COMPUTE_PGM_RSRC3_GFX90A:ACCUM_OFFSET: 37
; COMPUTE_PGM_RSRC3_GFX90A:TG_SPLIT: 0
	.text
	.p2alignl 6, 3212836864
	.fill 256, 4, 3212836864
	.type	__hip_cuid_528eedca21f22080,@object ; @__hip_cuid_528eedca21f22080
	.section	.bss,"aw",@nobits
	.globl	__hip_cuid_528eedca21f22080
__hip_cuid_528eedca21f22080:
	.byte	0                               ; 0x0
	.size	__hip_cuid_528eedca21f22080, 1

	.ident	"AMD clang version 19.0.0git (https://github.com/RadeonOpenCompute/llvm-project roc-6.4.0 25133 c7fe45cf4b819c5991fe208aaa96edf142730f1d)"
	.section	".note.GNU-stack","",@progbits
	.addrsig
	.addrsig_sym __hip_cuid_528eedca21f22080
	.amdgpu_metadata
---
amdhsa.kernels:
  - .agpr_count:     0
    .args:
      - .actual_access:  read_only
        .address_space:  global
        .offset:         0
        .size:           8
        .value_kind:     global_buffer
      - .actual_access:  read_only
        .address_space:  global
        .offset:         8
        .size:           8
        .value_kind:     global_buffer
      - .actual_access:  read_only
        .address_space:  global
        .offset:         16
        .size:           8
        .value_kind:     global_buffer
      - .actual_access:  read_only
        .address_space:  global
        .offset:         24
        .size:           8
        .value_kind:     global_buffer
      - .actual_access:  read_only
        .address_space:  global
        .offset:         32
        .size:           8
        .value_kind:     global_buffer
      - .offset:         40
        .size:           8
        .value_kind:     by_value
      - .address_space:  global
        .offset:         48
        .size:           8
        .value_kind:     global_buffer
      - .address_space:  global
        .offset:         56
        .size:           8
        .value_kind:     global_buffer
      - .address_space:  global
        .offset:         64
        .size:           8
        .value_kind:     global_buffer
      - .address_space:  global
        .offset:         72
        .size:           8
        .value_kind:     global_buffer
      - .offset:         80
        .size:           4
        .value_kind:     by_value
      - .address_space:  global
        .offset:         88
        .size:           8
        .value_kind:     global_buffer
      - .address_space:  global
        .offset:         96
        .size:           8
        .value_kind:     global_buffer
    .group_segment_fixed_size: 7056
    .kernarg_segment_align: 8
    .kernarg_segment_size: 104
    .language:       OpenCL C
    .language_version:
      - 2
      - 0
    .max_flat_workgroup_size: 63
    .name:           bluestein_single_fwd_len147_dim1_dp_op_CI_CI
    .private_segment_fixed_size: 0
    .sgpr_count:     36
    .sgpr_spill_count: 0
    .symbol:         bluestein_single_fwd_len147_dim1_dp_op_CI_CI.kd
    .uniform_work_group_size: 1
    .uses_dynamic_stack: false
    .vgpr_count:     152
    .vgpr_spill_count: 0
    .wavefront_size: 64
amdhsa.target:   amdgcn-amd-amdhsa--gfx950
amdhsa.version:
  - 1
  - 2
...

	.end_amdgpu_metadata
